;; amdgpu-corpus repo=zjin-lcf/HeCBench kind=compiled arch=gfx906 opt=O3
	.amdgcn_target "amdgcn-amd-amdhsa--gfx906"
	.amdhsa_code_object_version 6
	.text
	.protected	_Z17linear_regressionPK15HIP_vector_typeIfLj2EEPS_IfLj4EE ; -- Begin function _Z17linear_regressionPK15HIP_vector_typeIfLj2EEPS_IfLj4EE
	.globl	_Z17linear_regressionPK15HIP_vector_typeIfLj2EEPS_IfLj4EE
	.p2align	8
	.type	_Z17linear_regressionPK15HIP_vector_typeIfLj2EEPS_IfLj4EE,@function
_Z17linear_regressionPK15HIP_vector_typeIfLj2EEPS_IfLj4EE: ; @_Z17linear_regressionPK15HIP_vector_typeIfLj2EEPS_IfLj4EE
; %bb.0:
	s_load_dword s0, s[4:5], 0x1c
	s_load_dwordx2 s[2:3], s[4:5], 0x0
	v_lshlrev_b32_e32 v1, 3, v0
	s_mov_b32 s1, 0
	v_lshl_add_u32 v6, v0, 4, 0
	s_waitcnt lgkmcnt(0)
	s_and_b32 s0, s0, 0xffff
	s_mul_hi_u32 s9, s0, s6
	s_mul_i32 s8, s0, s6
	s_lshl_b64 s[8:9], s[8:9], 3
	s_add_u32 s2, s2, s8
	s_addc_u32 s3, s3, s9
	global_load_dwordx2 v[2:3], v1, s[2:3]
	v_mov_b32_e32 v1, 0
	s_cmp_lt_u32 s0, 2
	s_waitcnt vmcnt(0)
	v_mul_f32_e32 v4, v2, v3
	v_mul_f32_e32 v5, v2, v2
	ds_write_b128 v6, v[2:5]
	s_waitcnt lgkmcnt(0)
	s_barrier
	s_cbranch_scc1 .LBB0_6
; %bb.1:
	s_mov_b64 s[2:3], s[0:1]
	s_branch .LBB0_3
.LBB0_2:                                ;   in Loop: Header=BB0_3 Depth=1
	s_or_b64 exec, exec, s[10:11]
	v_cmp_lt_u64_e64 s[8:9], s[8:9], 4
	s_waitcnt lgkmcnt(0)
	s_and_b64 vcc, exec, s[8:9]
	s_barrier
	s_cbranch_vccnz .LBB0_6
.LBB0_3:                                ; =>This Inner Loop Header: Depth=1
	s_mov_b64 s[8:9], s[2:3]
	s_lshr_b64 s[2:3], s[2:3], 1
	v_cmp_gt_u64_e32 vcc, s[2:3], v[0:1]
	s_and_saveexec_b64 s[10:11], vcc
	s_cbranch_execz .LBB0_2
; %bb.4:                                ;   in Loop: Header=BB0_3 Depth=1
	s_lshl_b32 s0, s8, 3
	s_and_b32 s0, s0, -16
	v_add_u32_e32 v2, s0, v6
	ds_read_b128 v[2:5], v2
	ds_read_b128 v[7:10], v6
	s_add_u32 s12, s2, -1
	s_addc_u32 s13, s3, -1
	v_cmp_eq_u64_e32 vcc, s[12:13], v[0:1]
	s_bitcmp1_b32 s8, 0
	s_cselect_b64 s[12:13], -1, 0
	s_waitcnt lgkmcnt(0)
	v_add_f32_e32 v5, v5, v10
	v_add_f32_e32 v4, v4, v9
	;; [unrolled: 1-line block ×4, first 2 shown]
	s_and_b64 s[12:13], s[12:13], vcc
	ds_write_b128 v6, v[2:5]
	s_and_b64 exec, exec, s[12:13]
	s_cbranch_execz .LBB0_2
; %bb.5:                                ;   in Loop: Header=BB0_3 Depth=1
	s_lshl_b32 s0, s8, 4
	s_add_i32 s0, s0, 0
	s_add_i32 s0, s0, -16
	v_mov_b32_e32 v7, s0
	ds_read_b128 v[7:10], v7
	s_waitcnt lgkmcnt(0)
	v_add_f32_e32 v5, v5, v10
	v_add_f32_e32 v4, v4, v9
	;; [unrolled: 1-line block ×4, first 2 shown]
	ds_write_b128 v6, v[2:5]
	s_branch .LBB0_2
.LBB0_6:
	v_cmp_eq_u32_e32 vcc, 0, v0
	s_and_saveexec_b64 s[2:3], vcc
	s_cbranch_execz .LBB0_8
; %bb.7:
	s_load_dwordx2 s[2:3], s[4:5], 0x8
	v_mov_b32_e32 v4, 0
	ds_read_b128 v[0:3], v4
	s_mov_b32 s7, s1
	s_lshl_b64 s[0:1], s[6:7], 4
	s_waitcnt lgkmcnt(0)
	s_add_u32 s0, s2, s0
	s_addc_u32 s1, s3, s1
	global_store_dwordx4 v4, v[0:3], s[0:1]
.LBB0_8:
	s_endpgm
	.section	.rodata,"a",@progbits
	.p2align	6, 0x0
	.amdhsa_kernel _Z17linear_regressionPK15HIP_vector_typeIfLj2EEPS_IfLj4EE
		.amdhsa_group_segment_fixed_size 0
		.amdhsa_private_segment_fixed_size 0
		.amdhsa_kernarg_size 272
		.amdhsa_user_sgpr_count 6
		.amdhsa_user_sgpr_private_segment_buffer 1
		.amdhsa_user_sgpr_dispatch_ptr 0
		.amdhsa_user_sgpr_queue_ptr 0
		.amdhsa_user_sgpr_kernarg_segment_ptr 1
		.amdhsa_user_sgpr_dispatch_id 0
		.amdhsa_user_sgpr_flat_scratch_init 0
		.amdhsa_user_sgpr_private_segment_size 0
		.amdhsa_uses_dynamic_stack 0
		.amdhsa_system_sgpr_private_segment_wavefront_offset 0
		.amdhsa_system_sgpr_workgroup_id_x 1
		.amdhsa_system_sgpr_workgroup_id_y 0
		.amdhsa_system_sgpr_workgroup_id_z 0
		.amdhsa_system_sgpr_workgroup_info 0
		.amdhsa_system_vgpr_workitem_id 0
		.amdhsa_next_free_vgpr 11
		.amdhsa_next_free_sgpr 14
		.amdhsa_reserve_vcc 1
		.amdhsa_reserve_flat_scratch 0
		.amdhsa_float_round_mode_32 0
		.amdhsa_float_round_mode_16_64 0
		.amdhsa_float_denorm_mode_32 3
		.amdhsa_float_denorm_mode_16_64 3
		.amdhsa_dx10_clamp 1
		.amdhsa_ieee_mode 1
		.amdhsa_fp16_overflow 0
		.amdhsa_exception_fp_ieee_invalid_op 0
		.amdhsa_exception_fp_denorm_src 0
		.amdhsa_exception_fp_ieee_div_zero 0
		.amdhsa_exception_fp_ieee_overflow 0
		.amdhsa_exception_fp_ieee_underflow 0
		.amdhsa_exception_fp_ieee_inexact 0
		.amdhsa_exception_int_div_zero 0
	.end_amdhsa_kernel
	.text
.Lfunc_end0:
	.size	_Z17linear_regressionPK15HIP_vector_typeIfLj2EEPS_IfLj4EE, .Lfunc_end0-_Z17linear_regressionPK15HIP_vector_typeIfLj2EEPS_IfLj4EE
                                        ; -- End function
	.set _Z17linear_regressionPK15HIP_vector_typeIfLj2EEPS_IfLj4EE.num_vgpr, 11
	.set _Z17linear_regressionPK15HIP_vector_typeIfLj2EEPS_IfLj4EE.num_agpr, 0
	.set _Z17linear_regressionPK15HIP_vector_typeIfLj2EEPS_IfLj4EE.numbered_sgpr, 14
	.set _Z17linear_regressionPK15HIP_vector_typeIfLj2EEPS_IfLj4EE.num_named_barrier, 0
	.set _Z17linear_regressionPK15HIP_vector_typeIfLj2EEPS_IfLj4EE.private_seg_size, 0
	.set _Z17linear_regressionPK15HIP_vector_typeIfLj2EEPS_IfLj4EE.uses_vcc, 1
	.set _Z17linear_regressionPK15HIP_vector_typeIfLj2EEPS_IfLj4EE.uses_flat_scratch, 0
	.set _Z17linear_regressionPK15HIP_vector_typeIfLj2EEPS_IfLj4EE.has_dyn_sized_stack, 0
	.set _Z17linear_regressionPK15HIP_vector_typeIfLj2EEPS_IfLj4EE.has_recursion, 0
	.set _Z17linear_regressionPK15HIP_vector_typeIfLj2EEPS_IfLj4EE.has_indirect_call, 0
	.section	.AMDGPU.csdata,"",@progbits
; Kernel info:
; codeLenInByte = 376
; TotalNumSgprs: 18
; NumVgprs: 11
; ScratchSize: 0
; MemoryBound: 0
; FloatMode: 240
; IeeeMode: 1
; LDSByteSize: 0 bytes/workgroup (compile time only)
; SGPRBlocks: 2
; VGPRBlocks: 2
; NumSGPRsForWavesPerEU: 18
; NumVGPRsForWavesPerEU: 11
; Occupancy: 10
; WaveLimiterHint : 0
; COMPUTE_PGM_RSRC2:SCRATCH_EN: 0
; COMPUTE_PGM_RSRC2:USER_SGPR: 6
; COMPUTE_PGM_RSRC2:TRAP_HANDLER: 0
; COMPUTE_PGM_RSRC2:TGID_X_EN: 1
; COMPUTE_PGM_RSRC2:TGID_Y_EN: 0
; COMPUTE_PGM_RSRC2:TGID_Z_EN: 0
; COMPUTE_PGM_RSRC2:TIDIG_COMP_CNT: 0
	.text
	.protected	_Z8rsquaredPK15HIP_vector_typeIfLj2EEfS0_PS0_ ; -- Begin function _Z8rsquaredPK15HIP_vector_typeIfLj2EEfS0_PS0_
	.globl	_Z8rsquaredPK15HIP_vector_typeIfLj2EEfS0_PS0_
	.p2align	8
	.type	_Z8rsquaredPK15HIP_vector_typeIfLj2EEfS0_PS0_,@function
_Z8rsquaredPK15HIP_vector_typeIfLj2EEfS0_PS0_: ; @_Z8rsquaredPK15HIP_vector_typeIfLj2EEfS0_PS0_
; %bb.0:
	s_load_dword s2, s[4:5], 0x2c
	s_load_dwordx2 s[0:1], s[4:5], 0x0
	s_load_dword s12, s[4:5], 0x8
	s_load_dwordx2 s[8:9], s[4:5], 0x10
	v_lshlrev_b32_e32 v4, 3, v0
	s_waitcnt lgkmcnt(0)
	s_and_b32 s10, s2, 0xffff
	s_mul_hi_u32 s3, s10, s6
	s_mul_i32 s2, s10, s6
	s_lshl_b64 s[2:3], s[2:3], 3
	s_add_u32 s0, s0, s2
	s_addc_u32 s1, s1, s3
	global_load_dwordx2 v[2:3], v4, s[0:1]
	s_mov_b32 s17, 0x3f2aaaab
	s_mov_b32 s16, 0x3f317218
	v_mov_b32_e32 v7, 0x3e91f4c4
	v_mov_b32_e32 v6, 0x3ecccdef
	s_movk_i32 s7, 0x204
	s_mov_b32 s14, 0x42b17218
	s_mov_b32 s19, 0x3fb8aa3b
	;; [unrolled: 1-line block ×4, first 2 shown]
	s_brev_b32 s20, -2
	v_mov_b32_e32 v5, 0x7fc00000
	s_mov_b32 s11, 0
	v_mov_b32_e32 v1, 0
	v_add_u32_e32 v4, 0, v4
	s_waitcnt vmcnt(0)
	v_subrev_f32_e32 v3, s12, v3
	v_cmp_eq_f32_e32 vcc, 1.0, v3
	v_frexp_mant_f32_e64 v11, |v3|
	v_cndmask_b32_e64 v10, 2.0, 1.0, vcc
	v_cmp_gt_f32_e64 s[2:3], s17, v11
	v_cvt_f64_f32_e64 v[8:9], |v3|
	v_trunc_f32_e32 v12, v10
	v_mul_f32_e32 v13, 0.5, v10
	v_cndmask_b32_e64 v14, 1.0, 2.0, s[2:3]
	v_cmp_eq_f32_e32 vcc, v12, v10
	v_trunc_f32_e32 v12, v13
	v_mul_f32_e32 v11, v11, v14
	v_cmp_neq_f32_e64 s[0:1], v12, v13
	v_add_f32_e32 v13, 1.0, v11
	v_rcp_f32_e32 v14, v13
	v_frexp_exp_i32_f64_e32 v8, v[8:9]
	v_add_f32_e32 v12, -1.0, v11
	v_add_f32_e32 v15, -1.0, v13
	v_sub_f32_e32 v9, v11, v15
	v_mul_f32_e32 v11, v12, v14
	v_mul_f32_e32 v15, v13, v11
	v_fma_f32 v13, v11, v13, -v15
	v_fmac_f32_e32 v13, v11, v9
	v_add_f32_e32 v9, v15, v13
	v_subbrev_co_u32_e64 v8, s[2:3], 0, v8, s[2:3]
	v_sub_f32_e32 v16, v12, v9
	v_sub_f32_e32 v15, v9, v15
	v_cvt_f32_i32_e32 v8, v8
	v_sub_f32_e32 v12, v12, v16
	v_sub_f32_e32 v13, v15, v13
	;; [unrolled: 1-line block ×3, first 2 shown]
	v_add_f32_e32 v9, v13, v9
	v_add_f32_e32 v9, v16, v9
	v_mul_f32_e32 v12, 0x3f317218, v8
	v_mul_f32_e32 v9, v14, v9
	v_fma_f32 v13, v8, s16, -v12
	v_add_f32_e32 v14, v11, v9
	v_fmac_f32_e32 v13, 0xb102e308, v8
	v_sub_f32_e32 v8, v14, v11
	v_mul_f32_e32 v11, v14, v14
	v_sub_f32_e32 v9, v9, v8
	v_add_f32_e32 v15, v12, v13
	v_fma_f32 v8, v14, v14, -v11
	v_add_f32_e32 v16, v9, v9
	v_sub_f32_e32 v12, v15, v12
	v_fmac_f32_e32 v8, v14, v16
	v_sub_f32_e32 v12, v13, v12
	v_add_f32_e32 v13, v11, v8
	v_fmac_f32_e32 v7, 0x3e76c4e1, v13
	v_sub_f32_e32 v11, v13, v11
	v_mul_f32_e32 v16, v14, v13
	v_fma_f32 v7, v13, v7, v6
	v_sub_f32_e32 v8, v8, v11
	v_fma_f32 v11, v13, v14, -v16
	v_mul_f32_e32 v17, v13, v7
	v_fmac_f32_e32 v11, v13, v9
	v_fma_f32 v13, v13, v7, -v17
	v_fmac_f32_e32 v13, v8, v7
	v_add_f32_e32 v7, v17, v13
	v_fmac_f32_e32 v11, v8, v14
	v_add_f32_e32 v8, 0x3f2aaaaa, v7
	v_sub_f32_e32 v17, v7, v17
	v_sub_f32_e32 v13, v13, v17
	v_add_f32_e32 v17, 0xbf2aaaaa, v8
	v_add_f32_e32 v13, 0x31739010, v13
	v_sub_f32_e32 v7, v7, v17
	v_add_f32_e32 v7, v13, v7
	v_add_f32_e32 v18, v16, v11
	;; [unrolled: 1-line block ×3, first 2 shown]
	v_sub_f32_e32 v8, v8, v13
	v_mul_f32_e32 v17, v18, v13
	v_add_f32_e32 v7, v7, v8
	v_fma_f32 v19, v18, v13, -v17
	v_sub_f32_e32 v16, v18, v16
	v_fmac_f32_e32 v19, v18, v7
	v_sub_f32_e32 v11, v11, v16
	v_fmac_f32_e32 v19, v11, v13
	v_ldexp_f32 v14, v14, 1
	v_add_f32_e32 v11, v17, v19
	v_sub_f32_e32 v13, v11, v17
	v_add_f32_e32 v16, v14, v11
	v_ldexp_f32 v9, v9, 1
	v_sub_f32_e32 v13, v19, v13
	v_sub_f32_e32 v14, v16, v14
	;; [unrolled: 1-line block ×3, first 2 shown]
	v_add_f32_e32 v9, v9, v13
	v_add_f32_e32 v9, v9, v11
	;; [unrolled: 1-line block ×3, first 2 shown]
	v_sub_f32_e32 v13, v11, v16
	v_add_f32_e32 v14, v15, v11
	v_sub_f32_e32 v9, v9, v13
	v_sub_f32_e32 v13, v14, v15
	;; [unrolled: 1-line block ×4, first 2 shown]
	v_add_f32_e32 v13, v12, v9
	v_sub_f32_e32 v15, v15, v16
	v_sub_f32_e32 v16, v13, v12
	v_add_f32_e32 v11, v11, v15
	v_sub_f32_e32 v15, v13, v16
	v_sub_f32_e32 v9, v9, v16
	;; [unrolled: 1-line block ×3, first 2 shown]
	v_add_f32_e32 v11, v13, v11
	v_add_f32_e32 v9, v9, v12
	;; [unrolled: 1-line block ×3, first 2 shown]
	v_sub_f32_e32 v13, v12, v14
	v_sub_f32_e32 v11, v11, v13
	v_add_f32_e32 v9, v9, v11
	v_add_f32_e32 v11, v12, v9
	v_sub_f32_e32 v12, v11, v12
	v_mul_f32_e32 v13, v10, v11
	v_sub_f32_e32 v9, v9, v12
	v_fma_f32 v11, v10, v11, -v13
	v_fmac_f32_e32 v11, v10, v9
	v_add_f32_e32 v9, v13, v11
	v_cmp_class_f32_e64 s[2:3], v13, s7
	v_sub_f32_e32 v10, v9, v13
	v_cndmask_b32_e64 v9, v9, v13, s[2:3]
	v_mov_b32_e32 v8, 0x37000000
	v_cmp_eq_f32_e64 s[2:3], s14, v9
	v_sub_f32_e32 v10, v11, v10
	v_cndmask_b32_e64 v11, 0, v8, s[2:3]
	v_sub_f32_e32 v12, v9, v11
	v_mul_f32_e32 v13, 0x3fb8aa3b, v12
	v_fma_f32 v14, v12, s19, -v13
	v_rndne_f32_e32 v15, v13
	v_fmac_f32_e32 v14, 0x32a5705f, v12
	v_sub_f32_e32 v13, v13, v15
	v_add_f32_e32 v13, v13, v14
	v_cvt_i32_f32_e32 v15, v15
	v_exp_f32_e32 v13, v13
	v_cmp_neq_f32_e64 s[2:3], |v9|, s15
	v_cndmask_b32_e64 v9, 0, v10, s[2:3]
	v_cmp_ngt_f32_e64 s[2:3], s18, v12
	v_ldexp_f32 v10, v13, v15
	v_mov_b32_e32 v7, 0x7f800000
	v_cndmask_b32_e64 v10, 0, v10, s[2:3]
	v_cmp_nlt_f32_e64 s[2:3], s14, v12
	v_add_f32_e32 v9, v11, v9
	v_cndmask_b32_e64 v10, v7, v10, s[2:3]
	v_fma_f32 v9, v10, v9, v10
	v_cmp_class_f32_e64 s[2:3], v10, s7
	s_and_b64 s[0:1], vcc, s[0:1]
	v_cndmask_b32_e64 v9, v9, v10, s[2:3]
	v_cndmask_b32_e64 v10, 1.0, v3, s[0:1]
	v_bfi_b32 v9, s20, v9, v10
	v_cndmask_b32_e32 v10, v5, v9, vcc
	v_cmp_gt_f32_e32 vcc, 0, v3
	v_cndmask_b32_e32 v9, v9, v10, vcc
	v_cmp_eq_f32_e32 vcc, 0, v3
	v_cndmask_b32_e64 v10, v7, 0, vcc
	v_cndmask_b32_e64 v11, 0, v3, s[0:1]
	v_bfi_b32 v10, s20, v10, v11
	v_mov_b32_e32 v11, s8
	v_fma_f32 v2, s9, v2, v11
	v_subrev_f32_e32 v2, s12, v2
	v_cmp_eq_f32_e64 s[0:1], 1.0, v2
	v_cndmask_b32_e64 v11, 2.0, 1.0, s[0:1]
	v_trunc_f32_e32 v12, v11
	v_cmp_eq_f32_e64 s[0:1], v12, v11
	v_mul_f32_e32 v12, 0.5, v11
	v_trunc_f32_e32 v13, v12
	v_cmp_neq_f32_e64 s[2:3], v13, v12
	v_frexp_mant_f32_e64 v13, |v2|
	v_cmp_gt_f32_e64 s[8:9], s17, v13
	v_cndmask_b32_e64 v14, 1.0, 2.0, s[8:9]
	v_mul_f32_e32 v13, v13, v14
	v_add_f32_e32 v14, 1.0, v13
	v_rcp_f32_e32 v15, v14
	v_add_f32_e32 v16, -1.0, v13
	v_add_f32_e32 v17, -1.0, v14
	v_sub_f32_e32 v13, v13, v17
	v_mul_f32_e32 v17, v16, v15
	v_mul_f32_e32 v18, v14, v17
	v_fma_f32 v14, v17, v14, -v18
	v_fmac_f32_e32 v14, v17, v13
	v_add_f32_e32 v13, v18, v14
	v_sub_f32_e32 v19, v16, v13
	v_sub_f32_e32 v18, v13, v18
	;; [unrolled: 1-line block ×5, first 2 shown]
	v_add_f32_e32 v13, v14, v13
	v_add_f32_e32 v13, v19, v13
	v_mul_f32_e32 v13, v15, v13
	v_add_f32_e32 v14, v17, v13
	v_sub_f32_e32 v15, v14, v17
	v_sub_f32_e32 v15, v13, v15
	v_mul_f32_e32 v13, v14, v14
	v_fma_f32 v16, v14, v14, -v13
	v_add_f32_e32 v17, v15, v15
	v_fmac_f32_e32 v16, v14, v17
	v_mov_b32_e32 v12, 0x3e91f4c4
	v_add_f32_e32 v17, v13, v16
	v_fmac_f32_e32 v12, 0x3e76c4e1, v17
	v_fmac_f32_e32 v6, v17, v12
	v_sub_f32_e32 v12, v17, v13
	v_mul_f32_e32 v13, v14, v17
	v_sub_f32_e32 v12, v16, v12
	v_fma_f32 v16, v17, v14, -v13
	v_fmac_f32_e32 v16, v17, v15
	v_fmac_f32_e32 v16, v12, v14
	v_add_f32_e32 v18, v13, v16
	v_sub_f32_e32 v13, v18, v13
	v_sub_f32_e32 v16, v16, v13
	v_mul_f32_e32 v13, v17, v6
	v_fma_f32 v17, v17, v6, -v13
	v_fmac_f32_e32 v17, v12, v6
	v_add_f32_e32 v6, v13, v17
	v_sub_f32_e32 v19, v6, v13
	v_cvt_f64_f32_e64 v[12:13], |v2|
	v_sub_f32_e32 v17, v17, v19
	v_add_f32_e32 v19, 0x3f2aaaaa, v6
	v_add_f32_e32 v17, 0x31739010, v17
	v_frexp_exp_i32_f64_e32 v12, v[12:13]
	v_add_f32_e32 v13, 0xbf2aaaaa, v19
	v_sub_f32_e32 v6, v6, v13
	v_add_f32_e32 v6, v17, v6
	v_add_f32_e32 v13, v19, v6
	v_sub_f32_e32 v17, v19, v13
	v_add_f32_e32 v6, v6, v17
	v_mul_f32_e32 v17, v18, v13
	v_subbrev_co_u32_e64 v12, s[8:9], 0, v12, s[8:9]
	v_cvt_f32_i32_e32 v12, v12
	v_fma_f32 v19, v18, v13, -v17
	v_fmac_f32_e32 v19, v18, v6
	v_fmac_f32_e32 v19, v16, v13
	v_mul_f32_e32 v6, 0x3f317218, v12
	v_fma_f32 v13, v12, s16, -v6
	v_fmac_f32_e32 v13, 0xb102e308, v12
	v_ldexp_f32 v12, v15, 1
	v_add_f32_e32 v15, v6, v13
	v_sub_f32_e32 v6, v15, v6
	v_ldexp_f32 v14, v14, 1
	v_sub_f32_e32 v6, v13, v6
	v_add_f32_e32 v13, v17, v19
	v_sub_f32_e32 v16, v13, v17
	v_add_f32_e32 v17, v14, v13
	v_sub_f32_e32 v16, v19, v16
	v_sub_f32_e32 v14, v17, v14
	;; [unrolled: 1-line block ×3, first 2 shown]
	v_add_f32_e32 v12, v12, v16
	v_add_f32_e32 v12, v12, v13
	;; [unrolled: 1-line block ×3, first 2 shown]
	v_sub_f32_e32 v14, v13, v17
	v_sub_f32_e32 v12, v12, v14
	v_add_f32_e32 v14, v15, v13
	v_sub_f32_e32 v16, v14, v15
	v_sub_f32_e32 v17, v14, v16
	v_sub_f32_e32 v15, v15, v17
	v_sub_f32_e32 v13, v13, v16
	v_add_f32_e32 v13, v13, v15
	v_add_f32_e32 v15, v6, v12
	v_sub_f32_e32 v16, v15, v6
	v_sub_f32_e32 v17, v15, v16
	;; [unrolled: 1-line block ×4, first 2 shown]
	v_add_f32_e32 v6, v12, v6
	v_add_f32_e32 v12, v15, v13
	v_add_f32_e32 v13, v14, v12
	v_sub_f32_e32 v14, v13, v14
	v_sub_f32_e32 v12, v12, v14
	v_add_f32_e32 v6, v6, v12
	v_add_f32_e32 v12, v13, v6
	v_sub_f32_e32 v13, v12, v13
	v_sub_f32_e32 v6, v6, v13
	v_mul_f32_e32 v13, v11, v12
	v_fma_f32 v12, v11, v12, -v13
	v_fmac_f32_e32 v12, v11, v6
	v_add_f32_e32 v6, v13, v12
	v_cmp_class_f32_e64 s[8:9], v13, s7
	v_sub_f32_e32 v11, v6, v13
	v_cndmask_b32_e64 v6, v6, v13, s[8:9]
	v_cmp_eq_f32_e64 s[8:9], s14, v6
	v_cndmask_b32_e64 v8, 0, v8, s[8:9]
	v_sub_f32_e32 v11, v12, v11
	v_sub_f32_e32 v12, v6, v8
	v_mul_f32_e32 v13, 0x3fb8aa3b, v12
	v_fma_f32 v14, v12, s19, -v13
	v_rndne_f32_e32 v15, v13
	v_fmac_f32_e32 v14, 0x32a5705f, v12
	v_sub_f32_e32 v13, v13, v15
	v_add_f32_e32 v13, v13, v14
	v_exp_f32_e32 v13, v13
	v_cvt_i32_f32_e32 v14, v15
	v_cmp_neq_f32_e64 s[8:9], |v6|, s15
	v_cndmask_b32_e64 v6, 0, v11, s[8:9]
	v_add_f32_e32 v6, v8, v6
	v_ldexp_f32 v8, v13, v14
	v_cmp_ngt_f32_e64 s[8:9], s18, v12
	v_cndmask_b32_e64 v8, 0, v8, s[8:9]
	v_cmp_nlt_f32_e64 s[8:9], s14, v12
	v_cndmask_b32_e64 v8, v7, v8, s[8:9]
	v_fma_f32 v6, v8, v6, v8
	v_cmp_class_f32_e64 s[8:9], v8, s7
	s_and_b64 s[2:3], s[0:1], s[2:3]
	v_cndmask_b32_e64 v6, v6, v8, s[8:9]
	v_cndmask_b32_e64 v8, 1.0, v2, s[2:3]
	v_bfi_b32 v6, s20, v6, v8
	v_cndmask_b32_e64 v8, v5, v6, s[0:1]
	v_cmp_gt_f32_e64 s[0:1], 0, v2
	v_cmp_class_f32_e64 s[22:23], v3, s7
	v_cndmask_b32_e64 v8, v6, v8, s[0:1]
	v_cmp_eq_f32_e64 s[0:1], 0, v2
	s_or_b64 vcc, vcc, s[22:23]
	v_cmp_class_f32_e64 s[12:13], v2, s7
	v_cndmask_b32_e64 v6, v7, 0, s[0:1]
	v_cndmask_b32_e64 v7, 0, v2, s[2:3]
	v_bfi_b32 v7, s20, v6, v7
	s_or_b64 s[0:1], s[0:1], s[12:13]
	v_cndmask_b32_e32 v6, v9, v10, vcc
	v_cmp_o_f32_e32 vcc, v3, v3
	v_cndmask_b32_e32 v6, v5, v6, vcc
	v_cndmask_b32_e64 v3, v8, v7, s[0:1]
	v_cmp_o_f32_e32 vcc, v2, v2
	s_cmp_lt_u32 s10, 2
	v_cndmask_b32_e32 v7, v5, v3, vcc
	ds_write_b64 v4, v[6:7]
	s_waitcnt lgkmcnt(0)
	s_barrier
	s_cbranch_scc1 .LBB1_6
; %bb.1:
	s_mov_b64 s[0:1], s[10:11]
	s_branch .LBB1_3
.LBB1_2:                                ;   in Loop: Header=BB1_3 Depth=1
	s_or_b64 exec, exec, s[8:9]
	v_cmp_lt_u64_e64 s[2:3], s[2:3], 4
	s_waitcnt lgkmcnt(0)
	s_and_b64 vcc, exec, s[2:3]
	s_barrier
	s_cbranch_vccnz .LBB1_6
.LBB1_3:                                ; =>This Inner Loop Header: Depth=1
	s_mov_b64 s[2:3], s[0:1]
	s_lshr_b64 s[0:1], s[0:1], 1
	v_cmp_gt_u64_e32 vcc, s[0:1], v[0:1]
	s_and_saveexec_b64 s[8:9], vcc
	s_cbranch_execz .LBB1_2
; %bb.4:                                ;   in Loop: Header=BB1_3 Depth=1
	s_lshl_b32 s7, s2, 2
	s_and_b32 s7, s7, -8
	v_add_u32_e32 v2, s7, v4
	ds_read_b64 v[2:3], v2
	ds_read_b64 v[5:6], v4
	s_add_u32 s12, s0, -1
	s_addc_u32 s13, s1, -1
	v_cmp_eq_u64_e32 vcc, s[12:13], v[0:1]
	s_bitcmp1_b32 s2, 0
	s_cselect_b64 s[12:13], -1, 0
	s_waitcnt lgkmcnt(0)
	v_add_f32_e32 v3, v3, v6
	v_add_f32_e32 v2, v2, v5
	s_and_b64 s[12:13], s[12:13], vcc
	ds_write_b64 v4, v[2:3]
	s_and_b64 exec, exec, s[12:13]
	s_cbranch_execz .LBB1_2
; %bb.5:                                ;   in Loop: Header=BB1_3 Depth=1
	s_lshl_b32 s7, s2, 3
	s_add_i32 s7, s7, 0
	s_add_i32 s7, s7, -8
	v_mov_b32_e32 v5, s7
	ds_read_b64 v[5:6], v5
	s_waitcnt lgkmcnt(0)
	v_add_f32_e32 v3, v3, v6
	v_add_f32_e32 v2, v2, v5
	ds_write_b64 v4, v[2:3]
	s_branch .LBB1_2
.LBB1_6:
	v_cmp_eq_u32_e32 vcc, 0, v0
	s_and_saveexec_b64 s[0:1], vcc
	s_cbranch_execz .LBB1_8
; %bb.7:
	s_load_dwordx2 s[0:1], s[4:5], 0x18
	v_mov_b32_e32 v2, 0
	ds_read_b64 v[0:1], v2
	s_mov_b32 s7, s11
	s_lshl_b64 s[2:3], s[6:7], 3
	s_waitcnt lgkmcnt(0)
	s_add_u32 s0, s0, s2
	s_addc_u32 s1, s1, s3
	global_store_dwordx2 v2, v[0:1], s[0:1]
.LBB1_8:
	s_endpgm
	.section	.rodata,"a",@progbits
	.p2align	6, 0x0
	.amdhsa_kernel _Z8rsquaredPK15HIP_vector_typeIfLj2EEfS0_PS0_
		.amdhsa_group_segment_fixed_size 0
		.amdhsa_private_segment_fixed_size 0
		.amdhsa_kernarg_size 288
		.amdhsa_user_sgpr_count 6
		.amdhsa_user_sgpr_private_segment_buffer 1
		.amdhsa_user_sgpr_dispatch_ptr 0
		.amdhsa_user_sgpr_queue_ptr 0
		.amdhsa_user_sgpr_kernarg_segment_ptr 1
		.amdhsa_user_sgpr_dispatch_id 0
		.amdhsa_user_sgpr_flat_scratch_init 0
		.amdhsa_user_sgpr_private_segment_size 0
		.amdhsa_uses_dynamic_stack 0
		.amdhsa_system_sgpr_private_segment_wavefront_offset 0
		.amdhsa_system_sgpr_workgroup_id_x 1
		.amdhsa_system_sgpr_workgroup_id_y 0
		.amdhsa_system_sgpr_workgroup_id_z 0
		.amdhsa_system_sgpr_workgroup_info 0
		.amdhsa_system_vgpr_workitem_id 0
		.amdhsa_next_free_vgpr 20
		.amdhsa_next_free_sgpr 24
		.amdhsa_reserve_vcc 1
		.amdhsa_reserve_flat_scratch 0
		.amdhsa_float_round_mode_32 0
		.amdhsa_float_round_mode_16_64 0
		.amdhsa_float_denorm_mode_32 3
		.amdhsa_float_denorm_mode_16_64 3
		.amdhsa_dx10_clamp 1
		.amdhsa_ieee_mode 1
		.amdhsa_fp16_overflow 0
		.amdhsa_exception_fp_ieee_invalid_op 0
		.amdhsa_exception_fp_denorm_src 0
		.amdhsa_exception_fp_ieee_div_zero 0
		.amdhsa_exception_fp_ieee_overflow 0
		.amdhsa_exception_fp_ieee_underflow 0
		.amdhsa_exception_fp_ieee_inexact 0
		.amdhsa_exception_int_div_zero 0
	.end_amdhsa_kernel
	.text
.Lfunc_end1:
	.size	_Z8rsquaredPK15HIP_vector_typeIfLj2EEfS0_PS0_, .Lfunc_end1-_Z8rsquaredPK15HIP_vector_typeIfLj2EEfS0_PS0_
                                        ; -- End function
	.set _Z8rsquaredPK15HIP_vector_typeIfLj2EEfS0_PS0_.num_vgpr, 20
	.set _Z8rsquaredPK15HIP_vector_typeIfLj2EEfS0_PS0_.num_agpr, 0
	.set _Z8rsquaredPK15HIP_vector_typeIfLj2EEfS0_PS0_.numbered_sgpr, 24
	.set _Z8rsquaredPK15HIP_vector_typeIfLj2EEfS0_PS0_.num_named_barrier, 0
	.set _Z8rsquaredPK15HIP_vector_typeIfLj2EEfS0_PS0_.private_seg_size, 0
	.set _Z8rsquaredPK15HIP_vector_typeIfLj2EEfS0_PS0_.uses_vcc, 1
	.set _Z8rsquaredPK15HIP_vector_typeIfLj2EEfS0_PS0_.uses_flat_scratch, 0
	.set _Z8rsquaredPK15HIP_vector_typeIfLj2EEfS0_PS0_.has_dyn_sized_stack, 0
	.set _Z8rsquaredPK15HIP_vector_typeIfLj2EEfS0_PS0_.has_recursion, 0
	.set _Z8rsquaredPK15HIP_vector_typeIfLj2EEfS0_PS0_.has_indirect_call, 0
	.section	.AMDGPU.csdata,"",@progbits
; Kernel info:
; codeLenInByte = 2112
; TotalNumSgprs: 28
; NumVgprs: 20
; ScratchSize: 0
; MemoryBound: 0
; FloatMode: 240
; IeeeMode: 1
; LDSByteSize: 0 bytes/workgroup (compile time only)
; SGPRBlocks: 3
; VGPRBlocks: 4
; NumSGPRsForWavesPerEU: 28
; NumVGPRsForWavesPerEU: 20
; Occupancy: 10
; WaveLimiterHint : 0
; COMPUTE_PGM_RSRC2:SCRATCH_EN: 0
; COMPUTE_PGM_RSRC2:USER_SGPR: 6
; COMPUTE_PGM_RSRC2:TRAP_HANDLER: 0
; COMPUTE_PGM_RSRC2:TGID_X_EN: 1
; COMPUTE_PGM_RSRC2:TGID_Y_EN: 0
; COMPUTE_PGM_RSRC2:TGID_Z_EN: 0
; COMPUTE_PGM_RSRC2:TIDIG_COMP_CNT: 0
	.section	.AMDGPU.gpr_maximums,"",@progbits
	.set amdgpu.max_num_vgpr, 0
	.set amdgpu.max_num_agpr, 0
	.set amdgpu.max_num_sgpr, 0
	.section	.AMDGPU.csdata,"",@progbits
	.type	__hip_cuid_f7fc7922e496abb4,@object ; @__hip_cuid_f7fc7922e496abb4
	.section	.bss,"aw",@nobits
	.globl	__hip_cuid_f7fc7922e496abb4
__hip_cuid_f7fc7922e496abb4:
	.byte	0                               ; 0x0
	.size	__hip_cuid_f7fc7922e496abb4, 1

	.ident	"AMD clang version 22.0.0git (https://github.com/RadeonOpenCompute/llvm-project roc-7.2.4 26084 f58b06dce1f9c15707c5f808fd002e18c2accf7e)"
	.section	".note.GNU-stack","",@progbits
	.addrsig
	.addrsig_sym __hip_cuid_f7fc7922e496abb4
	.amdgpu_metadata
---
amdhsa.kernels:
  - .args:
      - .actual_access:  read_only
        .address_space:  global
        .offset:         0
        .size:           8
        .value_kind:     global_buffer
      - .actual_access:  write_only
        .address_space:  global
        .offset:         8
        .size:           8
        .value_kind:     global_buffer
      - .offset:         16
        .size:           4
        .value_kind:     hidden_block_count_x
      - .offset:         20
        .size:           4
        .value_kind:     hidden_block_count_y
      - .offset:         24
        .size:           4
        .value_kind:     hidden_block_count_z
      - .offset:         28
        .size:           2
        .value_kind:     hidden_group_size_x
      - .offset:         30
        .size:           2
        .value_kind:     hidden_group_size_y
      - .offset:         32
        .size:           2
        .value_kind:     hidden_group_size_z
      - .offset:         34
        .size:           2
        .value_kind:     hidden_remainder_x
      - .offset:         36
        .size:           2
        .value_kind:     hidden_remainder_y
      - .offset:         38
        .size:           2
        .value_kind:     hidden_remainder_z
      - .offset:         56
        .size:           8
        .value_kind:     hidden_global_offset_x
      - .offset:         64
        .size:           8
        .value_kind:     hidden_global_offset_y
      - .offset:         72
        .size:           8
        .value_kind:     hidden_global_offset_z
      - .offset:         80
        .size:           2
        .value_kind:     hidden_grid_dims
      - .offset:         136
        .size:           4
        .value_kind:     hidden_dynamic_lds_size
    .group_segment_fixed_size: 0
    .kernarg_segment_align: 8
    .kernarg_segment_size: 272
    .language:       OpenCL C
    .language_version:
      - 2
      - 0
    .max_flat_workgroup_size: 1024
    .name:           _Z17linear_regressionPK15HIP_vector_typeIfLj2EEPS_IfLj4EE
    .private_segment_fixed_size: 0
    .sgpr_count:     18
    .sgpr_spill_count: 0
    .symbol:         _Z17linear_regressionPK15HIP_vector_typeIfLj2EEPS_IfLj4EE.kd
    .uniform_work_group_size: 1
    .uses_dynamic_stack: false
    .vgpr_count:     11
    .vgpr_spill_count: 0
    .wavefront_size: 64
  - .args:
      - .actual_access:  read_only
        .address_space:  global
        .offset:         0
        .size:           8
        .value_kind:     global_buffer
      - .offset:         8
        .size:           4
        .value_kind:     by_value
      - .offset:         16
        .size:           8
        .value_kind:     by_value
      - .actual_access:  write_only
        .address_space:  global
        .offset:         24
        .size:           8
        .value_kind:     global_buffer
      - .offset:         32
        .size:           4
        .value_kind:     hidden_block_count_x
      - .offset:         36
        .size:           4
        .value_kind:     hidden_block_count_y
      - .offset:         40
        .size:           4
        .value_kind:     hidden_block_count_z
      - .offset:         44
        .size:           2
        .value_kind:     hidden_group_size_x
      - .offset:         46
        .size:           2
        .value_kind:     hidden_group_size_y
      - .offset:         48
        .size:           2
        .value_kind:     hidden_group_size_z
      - .offset:         50
        .size:           2
        .value_kind:     hidden_remainder_x
      - .offset:         52
        .size:           2
        .value_kind:     hidden_remainder_y
      - .offset:         54
        .size:           2
        .value_kind:     hidden_remainder_z
      - .offset:         72
        .size:           8
        .value_kind:     hidden_global_offset_x
      - .offset:         80
        .size:           8
        .value_kind:     hidden_global_offset_y
      - .offset:         88
        .size:           8
        .value_kind:     hidden_global_offset_z
      - .offset:         96
        .size:           2
        .value_kind:     hidden_grid_dims
      - .offset:         152
        .size:           4
        .value_kind:     hidden_dynamic_lds_size
    .group_segment_fixed_size: 0
    .kernarg_segment_align: 8
    .kernarg_segment_size: 288
    .language:       OpenCL C
    .language_version:
      - 2
      - 0
    .max_flat_workgroup_size: 1024
    .name:           _Z8rsquaredPK15HIP_vector_typeIfLj2EEfS0_PS0_
    .private_segment_fixed_size: 0
    .sgpr_count:     28
    .sgpr_spill_count: 0
    .symbol:         _Z8rsquaredPK15HIP_vector_typeIfLj2EEfS0_PS0_.kd
    .uniform_work_group_size: 1
    .uses_dynamic_stack: false
    .vgpr_count:     20
    .vgpr_spill_count: 0
    .wavefront_size: 64
amdhsa.target:   amdgcn-amd-amdhsa--gfx906
amdhsa.version:
  - 1
  - 2
...

	.end_amdgpu_metadata
